;; amdgpu-corpus repo=ROCm/rocBLAS kind=compiled arch=gfx906 opt=O3
	.amdgcn_target "amdgcn-amd-amdhsa--gfx906"
	.amdhsa_code_object_version 6
	.section	.text._ZL19rocblas_spr2_kernelILi128ELi8ELi2E24rocblas_internal_val_ptrIfEPKfPfEvbbiT2_T3_lllS6_lllT4_lli,"axG",@progbits,_ZL19rocblas_spr2_kernelILi128ELi8ELi2E24rocblas_internal_val_ptrIfEPKfPfEvbbiT2_T3_lllS6_lllT4_lli,comdat
	.globl	_ZL19rocblas_spr2_kernelILi128ELi8ELi2E24rocblas_internal_val_ptrIfEPKfPfEvbbiT2_T3_lllS6_lllT4_lli ; -- Begin function _ZL19rocblas_spr2_kernelILi128ELi8ELi2E24rocblas_internal_val_ptrIfEPKfPfEvbbiT2_T3_lllS6_lllT4_lli
	.p2align	8
	.type	_ZL19rocblas_spr2_kernelILi128ELi8ELi2E24rocblas_internal_val_ptrIfEPKfPfEvbbiT2_T3_lllS6_lllT4_lli,@function
_ZL19rocblas_spr2_kernelILi128ELi8ELi2E24rocblas_internal_val_ptrIfEPKfPfEvbbiT2_T3_lllS6_lllT4_lli: ; @_ZL19rocblas_spr2_kernelILi128ELi8ELi2E24rocblas_internal_val_ptrIfEPKfPfEvbbiT2_T3_lllS6_lllT4_lli
; %bb.0:
	s_load_dword s0, s[4:5], 0x0
	s_load_dwordx16 s[12:27], s[4:5], 0x8
	s_waitcnt lgkmcnt(0)
	s_bitcmp0_b32 s0, 0
	s_cbranch_scc0 .LBB0_2
; %bb.1:
	s_load_dword s9, s[12:13], 0x0
	s_cbranch_execz .LBB0_3
	s_branch .LBB0_4
.LBB0_2:
                                        ; implicit-def: $sgpr9
.LBB0_3:
	s_waitcnt lgkmcnt(0)
	s_mov_b32 s9, s12
.LBB0_4:
	s_waitcnt lgkmcnt(0)
	v_cmp_eq_f32_e64 s[0:1], s9, 0
	s_and_b64 vcc, exec, s[0:1]
	s_cbranch_vccnz .LBB0_22
; %bb.5:
	s_load_dwordx2 s[10:11], s[4:5], 0x0
	s_mov_b64 s[0:1], -1
	v_lshl_add_u32 v7, s6, 8, v0
	v_lshl_add_u32 v2, s7, 3, v1
                                        ; implicit-def: $vgpr0
	s_waitcnt lgkmcnt(0)
	s_bitcmp1_b32 s10, 8
	s_cselect_b64 s[2:3], -1, 0
	s_xor_b64 s[12:13], s[2:3], -1
	s_and_b64 vcc, exec, s[12:13]
	s_cbranch_vccz .LBB0_7
; %bb.6:
	s_lshl_b32 s0, s11, 1
	v_sub_u32_e32 v0, s0, v2
	v_mad_u64_u32 v[0:1], s[0:1], v2, v0, v[2:3]
	v_sub_u32_e32 v1, v7, v2
	s_mov_b64 s[0:1], 0
	v_lshrrev_b32_e32 v3, 31, v0
	v_add_u32_e32 v0, v0, v3
	v_ashrrev_i32_e32 v0, 1, v0
	v_add_u32_e32 v0, v1, v0
.LBB0_7:
	s_andn2_b64 vcc, exec, s[0:1]
	s_cbranch_vccnz .LBB0_9
; %bb.8:
	v_mad_u64_u32 v[0:1], s[0:1], v2, v2, v[2:3]
	v_lshrrev_b32_e32 v1, 31, v0
	v_add_u32_e32 v0, v0, v1
	v_ashrrev_i32_e32 v0, 1, v0
	v_add_u32_e32 v0, v0, v7
.LBB0_9:
	s_load_dwordx8 s[36:43], s[4:5], 0x48
	s_mul_i32 s2, s21, s8
	v_ashrrev_i32_e32 v1, 31, v2
	v_mul_lo_u32 v5, s27, v2
	v_mul_lo_u32 v6, s26, v1
	s_waitcnt lgkmcnt(0)
	s_mul_i32 s1, s43, s8
	s_mul_hi_u32 s3, s42, s8
	s_mul_i32 s0, s42, s8
	s_add_i32 s1, s3, s1
	s_lshl_b64 s[0:1], s[0:1], 2
	s_add_u32 s3, s38, s0
	s_addc_u32 s4, s39, s1
	s_lshl_b64 s[0:1], s[40:41], 2
	s_add_u32 s6, s3, s0
	s_mul_hi_u32 s0, s20, s8
	s_addc_u32 s7, s4, s1
	s_add_i32 s1, s0, s2
	s_mul_i32 s0, s20, s8
	s_lshl_b64 s[0:1], s[0:1], 2
	s_add_u32 s2, s14, s0
	s_addc_u32 s3, s15, s1
	s_lshl_b64 s[0:1], s[16:17], 2
	s_add_u32 s10, s2, s0
	s_addc_u32 s15, s3, s1
	s_mul_i32 s0, s37, s8
	s_mul_hi_u32 s1, s36, s8
	s_add_i32 s1, s1, s0
	s_mul_i32 s0, s36, s8
	s_lshl_b64 s[0:1], s[0:1], 2
	s_add_u32 s2, s22, s0
	s_addc_u32 s3, s23, s1
	s_lshl_b64 s[0:1], s[24:25], 2
	s_add_u32 s8, s2, s0
	s_addc_u32 s14, s3, s1
	v_mad_u64_u32 v[3:4], s[2:3], s26, v2, 0
	v_mul_lo_u32 v11, s19, v2
	v_mul_lo_u32 v1, s18, v1
	v_mad_u64_u32 v[9:10], s[2:3], s18, v2, 0
	v_add3_u32 v4, v4, v6, v5
	v_lshlrev_b64 v[5:6], 2, v[3:4]
	v_add3_u32 v10, v10, v1, v11
	v_lshlrev_b64 v[3:4], 2, v[9:10]
	v_cmp_le_i32_e64 s[0:1], s11, v2
	v_mov_b32_e32 v8, s14
	v_mov_b32_e32 v1, s15
	s_and_b64 vcc, exec, s[12:13]
	s_cbranch_vccz .LBB0_11
; %bb.10:
	v_cmp_gt_i32_e32 vcc, s11, v7
	v_cmp_ge_i32_e64 s[2:3], v7, v2
	s_and_b64 s[4:5], s[2:3], vcc
	s_mov_b64 s[2:3], 0
	s_and_b64 s[4:5], s[4:5], exec
	s_branch .LBB0_12
.LBB0_11:
	s_mov_b64 s[2:3], -1
	s_mov_b64 s[4:5], 0
.LBB0_12:
	v_add_co_u32_e32 v5, vcc, s8, v5
	v_addc_co_u32_e32 v6, vcc, v8, v6, vcc
	s_andn2_b64 vcc, exec, s[2:3]
	v_add_co_u32_e64 v3, s[2:3], s10, v3
	v_addc_co_u32_e64 v4, s[2:3], v1, v4, s[2:3]
	s_cbranch_vccz .LBB0_16
; %bb.13:
	v_ashrrev_i32_e32 v1, 31, v0
	s_and_saveexec_b64 s[2:3], s[4:5]
	s_cbranch_execnz .LBB0_17
.LBB0_14:
	s_or_b64 exec, exec, s[2:3]
	s_andn2_b64 vcc, exec, s[12:13]
	v_add_u32_e32 v7, 0x80, v7
	s_cbranch_vccnz .LBB0_18
.LBB0_15:
	v_cmp_gt_i32_e32 vcc, s11, v7
	v_cmp_le_i32_e64 s[2:3], v2, v7
	s_and_b64 s[2:3], s[2:3], vcc
	s_and_b64 s[2:3], s[2:3], exec
	s_cbranch_execz .LBB0_19
	s_branch .LBB0_20
.LBB0_16:
	v_cmp_le_i32_e32 vcc, v7, v2
	s_xor_b64 s[2:3], s[0:1], -1
	s_and_b64 s[2:3], vcc, s[2:3]
	s_andn2_b64 s[4:5], s[4:5], exec
	s_and_b64 s[2:3], s[2:3], exec
	s_or_b64 s[4:5], s[4:5], s[2:3]
	v_ashrrev_i32_e32 v1, 31, v0
	s_and_saveexec_b64 s[2:3], s[4:5]
	s_cbranch_execz .LBB0_14
.LBB0_17:
	v_ashrrev_i32_e32 v10, 31, v7
	v_mul_lo_u32 v11, s19, v7
	v_mad_u64_u32 v[8:9], s[4:5], s18, v7, 0
	v_mul_lo_u32 v12, s18, v10
	v_mul_lo_u32 v13, s27, v7
	;; [unrolled: 1-line block ×3, first 2 shown]
	v_add3_u32 v9, v9, v12, v11
	v_mad_u64_u32 v[10:11], s[4:5], s26, v7, 0
	v_lshlrev_b64 v[8:9], 2, v[8:9]
	v_mov_b32_e32 v12, s15
	v_add3_u32 v11, v11, v14, v13
	v_add_co_u32_e32 v8, vcc, s10, v8
	v_lshlrev_b64 v[10:11], 2, v[10:11]
	v_addc_co_u32_e32 v9, vcc, v12, v9, vcc
	v_mov_b32_e32 v13, s14
	v_add_co_u32_e32 v10, vcc, s8, v10
	v_addc_co_u32_e32 v11, vcc, v13, v11, vcc
	global_load_dword v12, v[5:6], off
	global_load_dword v13, v[10:11], off
	;; [unrolled: 1-line block ×4, first 2 shown]
	v_lshlrev_b64 v[8:9], 2, v[0:1]
	v_mov_b32_e32 v10, s7
	v_add_co_u32_e32 v8, vcc, s6, v8
	v_addc_co_u32_e32 v9, vcc, v10, v9, vcc
	global_load_dword v10, v[8:9], off
	s_waitcnt vmcnt(3)
	v_mul_f32_e32 v13, s9, v13
	s_waitcnt vmcnt(2)
	v_mul_f32_e32 v11, s9, v14
	;; [unrolled: 2-line block ×3, first 2 shown]
	v_fmac_f32_e32 v13, v11, v12
	s_waitcnt vmcnt(0)
	v_add_f32_e32 v10, v10, v13
	global_store_dword v[8:9], v10, off
	s_or_b64 exec, exec, s[2:3]
	s_andn2_b64 vcc, exec, s[12:13]
	v_add_u32_e32 v7, 0x80, v7
	s_cbranch_vccz .LBB0_15
.LBB0_18:
	s_mov_b64 s[2:3], 0
.LBB0_19:
	v_cmp_le_i32_e32 vcc, v7, v2
	s_xor_b64 s[0:1], s[0:1], -1
	s_and_b64 s[0:1], s[0:1], vcc
	s_andn2_b64 s[2:3], s[2:3], exec
	s_and_b64 s[0:1], s[0:1], exec
	s_or_b64 s[2:3], s[2:3], s[0:1]
.LBB0_20:
	s_and_saveexec_b64 s[0:1], s[2:3]
	s_cbranch_execz .LBB0_22
; %bb.21:
	v_ashrrev_i32_e32 v2, 31, v7
	v_mul_lo_u32 v10, s19, v7
	v_mad_u64_u32 v[8:9], s[0:1], s18, v7, 0
	v_mul_lo_u32 v11, s18, v2
	v_mul_lo_u32 v13, s27, v7
	;; [unrolled: 1-line block ×3, first 2 shown]
	v_mov_b32_e32 v12, s15
	v_add3_u32 v9, v9, v11, v10
	v_mad_u64_u32 v[10:11], s[0:1], s26, v7, 0
	v_lshlrev_b64 v[8:9], 2, v[8:9]
	v_lshlrev_b64 v[0:1], 2, v[0:1]
	v_add_co_u32_e32 v7, vcc, s10, v8
	v_add3_u32 v11, v11, v2, v13
	v_addc_co_u32_e32 v8, vcc, v12, v9, vcc
	global_load_dword v9, v[5:6], off
	v_lshlrev_b64 v[5:6], 2, v[10:11]
	v_mov_b32_e32 v2, s14
	v_add_co_u32_e32 v5, vcc, s8, v5
	v_addc_co_u32_e32 v6, vcc, v2, v6, vcc
	global_load_dword v2, v[5:6], off
	global_load_dword v10, v[7:8], off
	;; [unrolled: 1-line block ×3, first 2 shown]
	v_mov_b32_e32 v3, s7
	v_add_co_u32_e32 v0, vcc, s6, v0
	v_addc_co_u32_e32 v1, vcc, v3, v1, vcc
	global_load_dword v3, v[0:1], off offset:512
	s_waitcnt vmcnt(3)
	v_mul_f32_e32 v2, s9, v2
	s_waitcnt vmcnt(2)
	v_mul_f32_e32 v4, s9, v10
	;; [unrolled: 2-line block ×3, first 2 shown]
	v_fmac_f32_e32 v2, v4, v9
	s_waitcnt vmcnt(0)
	v_add_f32_e32 v2, v3, v2
	global_store_dword v[0:1], v2, off offset:512
.LBB0_22:
	s_endpgm
	.section	.rodata,"a",@progbits
	.p2align	6, 0x0
	.amdhsa_kernel _ZL19rocblas_spr2_kernelILi128ELi8ELi2E24rocblas_internal_val_ptrIfEPKfPfEvbbiT2_T3_lllS6_lllT4_lli
		.amdhsa_group_segment_fixed_size 0
		.amdhsa_private_segment_fixed_size 0
		.amdhsa_kernarg_size 108
		.amdhsa_user_sgpr_count 6
		.amdhsa_user_sgpr_private_segment_buffer 1
		.amdhsa_user_sgpr_dispatch_ptr 0
		.amdhsa_user_sgpr_queue_ptr 0
		.amdhsa_user_sgpr_kernarg_segment_ptr 1
		.amdhsa_user_sgpr_dispatch_id 0
		.amdhsa_user_sgpr_flat_scratch_init 0
		.amdhsa_user_sgpr_private_segment_size 0
		.amdhsa_uses_dynamic_stack 0
		.amdhsa_system_sgpr_private_segment_wavefront_offset 0
		.amdhsa_system_sgpr_workgroup_id_x 1
		.amdhsa_system_sgpr_workgroup_id_y 1
		.amdhsa_system_sgpr_workgroup_id_z 1
		.amdhsa_system_sgpr_workgroup_info 0
		.amdhsa_system_vgpr_workitem_id 1
		.amdhsa_next_free_vgpr 16
		.amdhsa_next_free_sgpr 44
		.amdhsa_reserve_vcc 1
		.amdhsa_reserve_flat_scratch 0
		.amdhsa_float_round_mode_32 0
		.amdhsa_float_round_mode_16_64 0
		.amdhsa_float_denorm_mode_32 3
		.amdhsa_float_denorm_mode_16_64 3
		.amdhsa_dx10_clamp 1
		.amdhsa_ieee_mode 1
		.amdhsa_fp16_overflow 0
		.amdhsa_exception_fp_ieee_invalid_op 0
		.amdhsa_exception_fp_denorm_src 0
		.amdhsa_exception_fp_ieee_div_zero 0
		.amdhsa_exception_fp_ieee_overflow 0
		.amdhsa_exception_fp_ieee_underflow 0
		.amdhsa_exception_fp_ieee_inexact 0
		.amdhsa_exception_int_div_zero 0
	.end_amdhsa_kernel
	.section	.text._ZL19rocblas_spr2_kernelILi128ELi8ELi2E24rocblas_internal_val_ptrIfEPKfPfEvbbiT2_T3_lllS6_lllT4_lli,"axG",@progbits,_ZL19rocblas_spr2_kernelILi128ELi8ELi2E24rocblas_internal_val_ptrIfEPKfPfEvbbiT2_T3_lllS6_lllT4_lli,comdat
.Lfunc_end0:
	.size	_ZL19rocblas_spr2_kernelILi128ELi8ELi2E24rocblas_internal_val_ptrIfEPKfPfEvbbiT2_T3_lllS6_lllT4_lli, .Lfunc_end0-_ZL19rocblas_spr2_kernelILi128ELi8ELi2E24rocblas_internal_val_ptrIfEPKfPfEvbbiT2_T3_lllS6_lllT4_lli
                                        ; -- End function
	.set _ZL19rocblas_spr2_kernelILi128ELi8ELi2E24rocblas_internal_val_ptrIfEPKfPfEvbbiT2_T3_lllS6_lllT4_lli.num_vgpr, 16
	.set _ZL19rocblas_spr2_kernelILi128ELi8ELi2E24rocblas_internal_val_ptrIfEPKfPfEvbbiT2_T3_lllS6_lllT4_lli.num_agpr, 0
	.set _ZL19rocblas_spr2_kernelILi128ELi8ELi2E24rocblas_internal_val_ptrIfEPKfPfEvbbiT2_T3_lllS6_lllT4_lli.numbered_sgpr, 44
	.set _ZL19rocblas_spr2_kernelILi128ELi8ELi2E24rocblas_internal_val_ptrIfEPKfPfEvbbiT2_T3_lllS6_lllT4_lli.num_named_barrier, 0
	.set _ZL19rocblas_spr2_kernelILi128ELi8ELi2E24rocblas_internal_val_ptrIfEPKfPfEvbbiT2_T3_lllS6_lllT4_lli.private_seg_size, 0
	.set _ZL19rocblas_spr2_kernelILi128ELi8ELi2E24rocblas_internal_val_ptrIfEPKfPfEvbbiT2_T3_lllS6_lllT4_lli.uses_vcc, 1
	.set _ZL19rocblas_spr2_kernelILi128ELi8ELi2E24rocblas_internal_val_ptrIfEPKfPfEvbbiT2_T3_lllS6_lllT4_lli.uses_flat_scratch, 0
	.set _ZL19rocblas_spr2_kernelILi128ELi8ELi2E24rocblas_internal_val_ptrIfEPKfPfEvbbiT2_T3_lllS6_lllT4_lli.has_dyn_sized_stack, 0
	.set _ZL19rocblas_spr2_kernelILi128ELi8ELi2E24rocblas_internal_val_ptrIfEPKfPfEvbbiT2_T3_lllS6_lllT4_lli.has_recursion, 0
	.set _ZL19rocblas_spr2_kernelILi128ELi8ELi2E24rocblas_internal_val_ptrIfEPKfPfEvbbiT2_T3_lllS6_lllT4_lli.has_indirect_call, 0
	.section	.AMDGPU.csdata,"",@progbits
; Kernel info:
; codeLenInByte = 1084
; TotalNumSgprs: 48
; NumVgprs: 16
; ScratchSize: 0
; MemoryBound: 0
; FloatMode: 240
; IeeeMode: 1
; LDSByteSize: 0 bytes/workgroup (compile time only)
; SGPRBlocks: 5
; VGPRBlocks: 3
; NumSGPRsForWavesPerEU: 48
; NumVGPRsForWavesPerEU: 16
; Occupancy: 10
; WaveLimiterHint : 0
; COMPUTE_PGM_RSRC2:SCRATCH_EN: 0
; COMPUTE_PGM_RSRC2:USER_SGPR: 6
; COMPUTE_PGM_RSRC2:TRAP_HANDLER: 0
; COMPUTE_PGM_RSRC2:TGID_X_EN: 1
; COMPUTE_PGM_RSRC2:TGID_Y_EN: 1
; COMPUTE_PGM_RSRC2:TGID_Z_EN: 1
; COMPUTE_PGM_RSRC2:TIDIG_COMP_CNT: 1
	.section	.text._ZL19rocblas_spr2_kernelILi128ELi8ELi1E24rocblas_internal_val_ptrIdEPKdPdEvbbiT2_T3_lllS6_lllT4_lli,"axG",@progbits,_ZL19rocblas_spr2_kernelILi128ELi8ELi1E24rocblas_internal_val_ptrIdEPKdPdEvbbiT2_T3_lllS6_lllT4_lli,comdat
	.globl	_ZL19rocblas_spr2_kernelILi128ELi8ELi1E24rocblas_internal_val_ptrIdEPKdPdEvbbiT2_T3_lllS6_lllT4_lli ; -- Begin function _ZL19rocblas_spr2_kernelILi128ELi8ELi1E24rocblas_internal_val_ptrIdEPKdPdEvbbiT2_T3_lllS6_lllT4_lli
	.p2align	8
	.type	_ZL19rocblas_spr2_kernelILi128ELi8ELi1E24rocblas_internal_val_ptrIdEPKdPdEvbbiT2_T3_lllS6_lllT4_lli,@function
_ZL19rocblas_spr2_kernelILi128ELi8ELi1E24rocblas_internal_val_ptrIdEPKdPdEvbbiT2_T3_lllS6_lllT4_lli: ; @_ZL19rocblas_spr2_kernelILi128ELi8ELi1E24rocblas_internal_val_ptrIdEPKdPdEvbbiT2_T3_lllS6_lllT4_lli
; %bb.0:
	s_load_dword s0, s[4:5], 0x0
	s_load_dwordx16 s[12:27], s[4:5], 0x8
	s_waitcnt lgkmcnt(0)
	s_bitcmp1_b32 s0, 0
	s_cselect_b64 s[0:1], -1, 0
	v_mov_b32_e32 v2, s12
	s_and_b64 vcc, exec, s[0:1]
	v_mov_b32_e32 v3, s13
	s_cbranch_vccnz .LBB1_2
; %bb.1:
	v_mov_b32_e32 v2, s12
	v_mov_b32_e32 v3, s13
	flat_load_dwordx2 v[2:3], v[2:3]
.LBB1_2:
	s_waitcnt vmcnt(0) lgkmcnt(0)
	v_cmp_neq_f64_e32 vcc, 0, v[2:3]
	s_and_saveexec_b64 s[0:1], vcc
	s_cbranch_execz .LBB1_13
; %bb.3:
	s_load_dwordx2 s[2:3], s[4:5], 0x0
	s_mov_b64 s[10:11], -1
	v_lshl_add_u32 v4, s6, 7, v0
	v_lshl_add_u32 v1, s7, 3, v1
                                        ; implicit-def: $vgpr0
	s_waitcnt lgkmcnt(0)
	s_bitcmp1_b32 s2, 8
	s_cselect_b64 s[0:1], -1, 0
	s_xor_b64 s[0:1], s[0:1], -1
	s_and_b64 vcc, exec, s[0:1]
	s_cbranch_vccnz .LBB1_7
; %bb.4:
	s_andn2_b64 vcc, exec, s[10:11]
	s_cbranch_vccz .LBB1_8
.LBB1_5:
	s_and_b64 vcc, exec, s[0:1]
	s_cbranch_vccz .LBB1_9
.LBB1_6:
	v_cmp_gt_i32_e32 vcc, s3, v4
	v_cmp_ge_i32_e64 s[0:1], v4, v1
	s_and_b64 s[6:7], s[0:1], vcc
	s_and_b64 s[6:7], s[6:7], exec
	s_cbranch_execz .LBB1_10
	s_branch .LBB1_11
.LBB1_7:
	s_lshl_b32 s2, s3, 1
	v_sub_u32_e32 v0, s2, v1
	v_mad_u64_u32 v[5:6], s[6:7], v1, v0, v[1:2]
	v_sub_u32_e32 v0, v4, v1
	v_lshrrev_b32_e32 v6, 31, v5
	v_add_u32_e32 v5, v5, v6
	v_ashrrev_i32_e32 v5, 1, v5
	v_add_u32_e32 v0, v0, v5
	s_cbranch_execnz .LBB1_5
.LBB1_8:
	v_mad_u64_u32 v[5:6], s[6:7], v1, v1, v[1:2]
	v_lshrrev_b32_e32 v0, 31, v5
	v_add_u32_e32 v0, v5, v0
	v_ashrrev_i32_e32 v0, 1, v0
	v_add_u32_e32 v0, v0, v4
	s_and_b64 vcc, exec, s[0:1]
	s_cbranch_vccnz .LBB1_6
.LBB1_9:
	s_mov_b64 s[6:7], 0
.LBB1_10:
	v_cmp_gt_i32_e32 vcc, s3, v1
	v_cmp_le_i32_e64 s[0:1], v4, v1
	s_and_b64 s[0:1], s[0:1], vcc
	s_andn2_b64 s[2:3], s[6:7], exec
	s_and_b64 s[0:1], s[0:1], exec
	s_or_b64 s[6:7], s[2:3], s[0:1]
.LBB1_11:
	s_and_b64 exec, exec, s[6:7]
	s_cbranch_execz .LBB1_13
; %bb.12:
	s_mul_i32 s0, s21, s8
	s_mul_hi_u32 s1, s20, s8
	s_load_dwordx8 s[36:43], s[4:5], 0x48
	s_add_i32 s1, s1, s0
	s_mul_i32 s0, s20, s8
	s_lshl_b64 s[0:1], s[0:1], 3
	s_add_u32 s2, s14, s0
	s_addc_u32 s3, s15, s1
	s_lshl_b64 s[0:1], s[16:17], 3
	s_add_u32 s2, s2, s0
	s_addc_u32 s3, s3, s1
	s_waitcnt lgkmcnt(0)
	s_mul_i32 s0, s37, s8
	s_mul_hi_u32 s1, s36, s8
	s_add_i32 s1, s1, s0
	s_mul_i32 s0, s36, s8
	s_lshl_b64 s[0:1], s[0:1], 3
	s_add_u32 s4, s22, s0
	v_ashrrev_i32_e32 v7, 31, v1
	s_addc_u32 s5, s23, s1
	v_mul_lo_u32 v8, s27, v1
	v_mul_lo_u32 v9, s26, v7
	v_mad_u64_u32 v[5:6], s[0:1], s26, v1, 0
	s_lshl_b64 s[0:1], s[24:25], 3
	s_add_u32 s4, s4, s0
	s_addc_u32 s5, s5, s1
	v_add3_u32 v6, v6, v9, v8
	v_mul_lo_u32 v10, s19, v1
	v_mul_lo_u32 v11, s18, v7
	v_mad_u64_u32 v[7:8], s[0:1], s18, v1, 0
	v_lshlrev_b64 v[5:6], 3, v[5:6]
	v_mov_b32_e32 v9, s5
	v_add3_u32 v8, v8, v11, v10
	v_add_co_u32_e32 v5, vcc, s4, v5
	v_lshlrev_b64 v[7:8], 3, v[7:8]
	v_addc_co_u32_e32 v6, vcc, v9, v6, vcc
	v_mov_b32_e32 v1, s3
	v_add_co_u32_e32 v7, vcc, s2, v7
	v_addc_co_u32_e32 v8, vcc, v1, v8, vcc
	v_ashrrev_i32_e32 v1, 31, v4
	v_mul_lo_u32 v14, s18, v1
	v_mul_lo_u32 v15, s27, v4
	;; [unrolled: 1-line block ×3, first 2 shown]
	v_mad_u64_u32 v[11:12], s[0:1], s26, v4, 0
	v_mul_lo_u32 v13, s19, v4
	v_mad_u64_u32 v[9:10], s[0:1], s18, v4, 0
	v_add3_u32 v12, v12, v1, v15
	v_lshlrev_b64 v[11:12], 3, v[11:12]
	v_mov_b32_e32 v1, s5
	v_add_co_u32_e32 v11, vcc, s4, v11
	v_addc_co_u32_e32 v12, vcc, v1, v12, vcc
	global_load_dwordx2 v[11:12], v[11:12], off
	v_add3_u32 v10, v10, v14, v13
	v_lshlrev_b64 v[9:10], 3, v[9:10]
	v_mov_b32_e32 v1, s3
	v_add_co_u32_e32 v9, vcc, s2, v9
	v_addc_co_u32_e32 v10, vcc, v1, v10, vcc
	global_load_dwordx2 v[13:14], v[9:10], off
	global_load_dwordx2 v[15:16], v[7:8], off
	s_mul_i32 s6, s43, s8
	s_mul_hi_u32 s0, s42, s8
	s_add_i32 s1, s0, s6
	s_mul_i32 s0, s42, s8
	global_load_dwordx2 v[4:5], v[5:6], off
	s_lshl_b64 s[0:1], s[0:1], 3
	s_add_u32 s2, s38, s0
	s_addc_u32 s3, s39, s1
	s_lshl_b64 s[0:1], s[40:41], 3
	v_ashrrev_i32_e32 v1, 31, v0
	s_add_u32 s0, s2, s0
	v_lshlrev_b64 v[0:1], 3, v[0:1]
	s_addc_u32 s1, s3, s1
	v_mov_b32_e32 v6, s1
	v_add_co_u32_e32 v0, vcc, s0, v0
	v_addc_co_u32_e32 v1, vcc, v6, v1, vcc
	global_load_dwordx2 v[6:7], v[0:1], off
	s_waitcnt vmcnt(4)
	v_mul_f64 v[8:9], v[2:3], v[11:12]
	s_waitcnt vmcnt(3)
	v_mul_f64 v[2:3], v[2:3], v[13:14]
	;; [unrolled: 2-line block ×3, first 2 shown]
	s_waitcnt vmcnt(1)
	v_fma_f64 v[2:3], v[2:3], v[4:5], v[8:9]
	s_waitcnt vmcnt(0)
	v_add_f64 v[2:3], v[6:7], v[2:3]
	global_store_dwordx2 v[0:1], v[2:3], off
.LBB1_13:
	s_endpgm
	.section	.rodata,"a",@progbits
	.p2align	6, 0x0
	.amdhsa_kernel _ZL19rocblas_spr2_kernelILi128ELi8ELi1E24rocblas_internal_val_ptrIdEPKdPdEvbbiT2_T3_lllS6_lllT4_lli
		.amdhsa_group_segment_fixed_size 0
		.amdhsa_private_segment_fixed_size 0
		.amdhsa_kernarg_size 108
		.amdhsa_user_sgpr_count 6
		.amdhsa_user_sgpr_private_segment_buffer 1
		.amdhsa_user_sgpr_dispatch_ptr 0
		.amdhsa_user_sgpr_queue_ptr 0
		.amdhsa_user_sgpr_kernarg_segment_ptr 1
		.amdhsa_user_sgpr_dispatch_id 0
		.amdhsa_user_sgpr_flat_scratch_init 0
		.amdhsa_user_sgpr_private_segment_size 0
		.amdhsa_uses_dynamic_stack 0
		.amdhsa_system_sgpr_private_segment_wavefront_offset 0
		.amdhsa_system_sgpr_workgroup_id_x 1
		.amdhsa_system_sgpr_workgroup_id_y 1
		.amdhsa_system_sgpr_workgroup_id_z 1
		.amdhsa_system_sgpr_workgroup_info 0
		.amdhsa_system_vgpr_workitem_id 1
		.amdhsa_next_free_vgpr 17
		.amdhsa_next_free_sgpr 44
		.amdhsa_reserve_vcc 1
		.amdhsa_reserve_flat_scratch 0
		.amdhsa_float_round_mode_32 0
		.amdhsa_float_round_mode_16_64 0
		.amdhsa_float_denorm_mode_32 3
		.amdhsa_float_denorm_mode_16_64 3
		.amdhsa_dx10_clamp 1
		.amdhsa_ieee_mode 1
		.amdhsa_fp16_overflow 0
		.amdhsa_exception_fp_ieee_invalid_op 0
		.amdhsa_exception_fp_denorm_src 0
		.amdhsa_exception_fp_ieee_div_zero 0
		.amdhsa_exception_fp_ieee_overflow 0
		.amdhsa_exception_fp_ieee_underflow 0
		.amdhsa_exception_fp_ieee_inexact 0
		.amdhsa_exception_int_div_zero 0
	.end_amdhsa_kernel
	.section	.text._ZL19rocblas_spr2_kernelILi128ELi8ELi1E24rocblas_internal_val_ptrIdEPKdPdEvbbiT2_T3_lllS6_lllT4_lli,"axG",@progbits,_ZL19rocblas_spr2_kernelILi128ELi8ELi1E24rocblas_internal_val_ptrIdEPKdPdEvbbiT2_T3_lllS6_lllT4_lli,comdat
.Lfunc_end1:
	.size	_ZL19rocblas_spr2_kernelILi128ELi8ELi1E24rocblas_internal_val_ptrIdEPKdPdEvbbiT2_T3_lllS6_lllT4_lli, .Lfunc_end1-_ZL19rocblas_spr2_kernelILi128ELi8ELi1E24rocblas_internal_val_ptrIdEPKdPdEvbbiT2_T3_lllS6_lllT4_lli
                                        ; -- End function
	.set _ZL19rocblas_spr2_kernelILi128ELi8ELi1E24rocblas_internal_val_ptrIdEPKdPdEvbbiT2_T3_lllS6_lllT4_lli.num_vgpr, 17
	.set _ZL19rocblas_spr2_kernelILi128ELi8ELi1E24rocblas_internal_val_ptrIdEPKdPdEvbbiT2_T3_lllS6_lllT4_lli.num_agpr, 0
	.set _ZL19rocblas_spr2_kernelILi128ELi8ELi1E24rocblas_internal_val_ptrIdEPKdPdEvbbiT2_T3_lllS6_lllT4_lli.numbered_sgpr, 44
	.set _ZL19rocblas_spr2_kernelILi128ELi8ELi1E24rocblas_internal_val_ptrIdEPKdPdEvbbiT2_T3_lllS6_lllT4_lli.num_named_barrier, 0
	.set _ZL19rocblas_spr2_kernelILi128ELi8ELi1E24rocblas_internal_val_ptrIdEPKdPdEvbbiT2_T3_lllS6_lllT4_lli.private_seg_size, 0
	.set _ZL19rocblas_spr2_kernelILi128ELi8ELi1E24rocblas_internal_val_ptrIdEPKdPdEvbbiT2_T3_lllS6_lllT4_lli.uses_vcc, 1
	.set _ZL19rocblas_spr2_kernelILi128ELi8ELi1E24rocblas_internal_val_ptrIdEPKdPdEvbbiT2_T3_lllS6_lllT4_lli.uses_flat_scratch, 0
	.set _ZL19rocblas_spr2_kernelILi128ELi8ELi1E24rocblas_internal_val_ptrIdEPKdPdEvbbiT2_T3_lllS6_lllT4_lli.has_dyn_sized_stack, 0
	.set _ZL19rocblas_spr2_kernelILi128ELi8ELi1E24rocblas_internal_val_ptrIdEPKdPdEvbbiT2_T3_lllS6_lllT4_lli.has_recursion, 0
	.set _ZL19rocblas_spr2_kernelILi128ELi8ELi1E24rocblas_internal_val_ptrIdEPKdPdEvbbiT2_T3_lllS6_lllT4_lli.has_indirect_call, 0
	.section	.AMDGPU.csdata,"",@progbits
; Kernel info:
; codeLenInByte = 768
; TotalNumSgprs: 48
; NumVgprs: 17
; ScratchSize: 0
; MemoryBound: 0
; FloatMode: 240
; IeeeMode: 1
; LDSByteSize: 0 bytes/workgroup (compile time only)
; SGPRBlocks: 5
; VGPRBlocks: 4
; NumSGPRsForWavesPerEU: 48
; NumVGPRsForWavesPerEU: 17
; Occupancy: 10
; WaveLimiterHint : 0
; COMPUTE_PGM_RSRC2:SCRATCH_EN: 0
; COMPUTE_PGM_RSRC2:USER_SGPR: 6
; COMPUTE_PGM_RSRC2:TRAP_HANDLER: 0
; COMPUTE_PGM_RSRC2:TGID_X_EN: 1
; COMPUTE_PGM_RSRC2:TGID_Y_EN: 1
; COMPUTE_PGM_RSRC2:TGID_Z_EN: 1
; COMPUTE_PGM_RSRC2:TIDIG_COMP_CNT: 1
	.section	.text._ZL19rocblas_spr2_kernelILi128ELi8ELi2E24rocblas_internal_val_ptrIfEPKPKfPKPfEvbbiT2_T3_lllSA_lllT4_lli,"axG",@progbits,_ZL19rocblas_spr2_kernelILi128ELi8ELi2E24rocblas_internal_val_ptrIfEPKPKfPKPfEvbbiT2_T3_lllSA_lllT4_lli,comdat
	.globl	_ZL19rocblas_spr2_kernelILi128ELi8ELi2E24rocblas_internal_val_ptrIfEPKPKfPKPfEvbbiT2_T3_lllSA_lllT4_lli ; -- Begin function _ZL19rocblas_spr2_kernelILi128ELi8ELi2E24rocblas_internal_val_ptrIfEPKPKfPKPfEvbbiT2_T3_lllSA_lllT4_lli
	.p2align	8
	.type	_ZL19rocblas_spr2_kernelILi128ELi8ELi2E24rocblas_internal_val_ptrIfEPKPKfPKPfEvbbiT2_T3_lllSA_lllT4_lli,@function
_ZL19rocblas_spr2_kernelILi128ELi8ELi2E24rocblas_internal_val_ptrIfEPKPKfPKPfEvbbiT2_T3_lllSA_lllT4_lli: ; @_ZL19rocblas_spr2_kernelILi128ELi8ELi2E24rocblas_internal_val_ptrIfEPKPKfPKPfEvbbiT2_T3_lllSA_lllT4_lli
; %bb.0:
	s_load_dword s0, s[4:5], 0x0
	s_load_dwordx8 s[12:19], s[4:5], 0x8
	s_waitcnt lgkmcnt(0)
	s_bitcmp0_b32 s0, 0
	s_cbranch_scc0 .LBB2_2
; %bb.1:
	s_load_dword s26, s[12:13], 0x0
	s_cbranch_execz .LBB2_3
	s_branch .LBB2_4
.LBB2_2:
                                        ; implicit-def: $sgpr26
.LBB2_3:
	s_waitcnt lgkmcnt(0)
	s_mov_b32 s26, s12
.LBB2_4:
	s_waitcnt lgkmcnt(0)
	v_cmp_eq_f32_e64 s[0:1], s26, 0
	s_mov_b32 s9, 0
	s_and_b64 vcc, exec, s[0:1]
	s_cbranch_vccnz .LBB2_22
; %bb.5:
	s_load_dwordx2 s[12:13], s[4:5], 0x0
	s_load_dwordx4 s[0:3], s[4:5], 0x30
	s_load_dwordx2 s[10:11], s[4:5], 0x40
	s_load_dwordx4 s[20:23], s[4:5], 0x50
	s_mov_b64 s[24:25], -1
	v_lshl_add_u32 v7, s6, 8, v0
	s_waitcnt lgkmcnt(0)
	s_bitcmp1_b32 s12, 8
	s_cselect_b64 s[4:5], -1, 0
	s_xor_b64 s[4:5], s[4:5], -1
	s_lshl_b64 s[28:29], s[8:9], 3
	s_add_u32 s8, s20, s28
	s_addc_u32 s9, s21, s29
	s_add_u32 s14, s14, s28
	s_addc_u32 s15, s15, s29
	;; [unrolled: 2-line block ×3, first 2 shown]
	s_load_dwordx2 s[8:9], s[8:9], 0x0
	v_lshl_add_u32 v2, s7, 3, v1
	s_load_dwordx2 s[14:15], s[14:15], 0x0
	s_and_b64 vcc, exec, s[4:5]
	s_load_dwordx2 s[0:1], s[0:1], 0x0
                                        ; implicit-def: $vgpr0
	s_cbranch_vccz .LBB2_7
; %bb.6:
	s_lshl_b32 s6, s13, 1
	v_sub_u32_e32 v0, s6, v2
	v_mad_u64_u32 v[0:1], s[6:7], v2, v0, v[2:3]
	v_sub_u32_e32 v1, v7, v2
	s_mov_b64 s[24:25], 0
	v_lshrrev_b32_e32 v3, 31, v0
	v_add_u32_e32 v0, v0, v3
	v_ashrrev_i32_e32 v0, 1, v0
	v_add_u32_e32 v0, v1, v0
.LBB2_7:
	s_andn2_b64 vcc, exec, s[24:25]
	s_cbranch_vccnz .LBB2_9
; %bb.8:
	v_mad_u64_u32 v[0:1], s[6:7], v2, v2, v[2:3]
	v_lshrrev_b32_e32 v1, 31, v0
	v_add_u32_e32 v0, v0, v1
	v_ashrrev_i32_e32 v0, 1, v0
	v_add_u32_e32 v0, v0, v7
.LBB2_9:
	s_lshl_b64 s[6:7], s[22:23], 2
	s_waitcnt lgkmcnt(0)
	s_add_u32 s8, s8, s6
	s_addc_u32 s9, s9, s7
	s_lshl_b64 s[6:7], s[16:17], 2
	s_add_u32 s16, s14, s6
	s_addc_u32 s15, s15, s7
	s_lshl_b64 s[2:3], s[2:3], 2
	s_add_u32 s12, s0, s2
	v_ashrrev_i32_e32 v1, 31, v2
	s_addc_u32 s14, s1, s3
	v_mul_lo_u32 v5, s11, v2
	v_mul_lo_u32 v6, s10, v1
	v_mad_u64_u32 v[3:4], s[2:3], s10, v2, 0
	v_mul_lo_u32 v11, s19, v2
	v_mul_lo_u32 v1, s18, v1
	v_mad_u64_u32 v[9:10], s[2:3], s18, v2, 0
	v_add3_u32 v4, v4, v6, v5
	v_lshlrev_b64 v[5:6], 2, v[3:4]
	v_add3_u32 v10, v10, v1, v11
	v_lshlrev_b64 v[3:4], 2, v[9:10]
	v_cmp_le_i32_e64 s[0:1], s13, v2
	v_mov_b32_e32 v8, s14
	v_mov_b32_e32 v1, s15
	s_and_b64 vcc, exec, s[4:5]
	s_cbranch_vccz .LBB2_11
; %bb.10:
	v_cmp_gt_i32_e32 vcc, s13, v7
	v_cmp_ge_i32_e64 s[2:3], v7, v2
	s_and_b64 s[6:7], s[2:3], vcc
	s_mov_b64 s[2:3], 0
	s_and_b64 s[6:7], s[6:7], exec
	s_branch .LBB2_12
.LBB2_11:
	s_mov_b64 s[2:3], -1
	s_mov_b64 s[6:7], 0
.LBB2_12:
	v_add_co_u32_e32 v5, vcc, s12, v5
	v_addc_co_u32_e32 v6, vcc, v8, v6, vcc
	s_andn2_b64 vcc, exec, s[2:3]
	v_add_co_u32_e64 v3, s[2:3], s16, v3
	v_addc_co_u32_e64 v4, s[2:3], v1, v4, s[2:3]
	s_cbranch_vccz .LBB2_16
; %bb.13:
	v_ashrrev_i32_e32 v1, 31, v0
	s_and_saveexec_b64 s[2:3], s[6:7]
	s_cbranch_execnz .LBB2_17
.LBB2_14:
	s_or_b64 exec, exec, s[2:3]
	s_andn2_b64 vcc, exec, s[4:5]
	v_add_u32_e32 v7, 0x80, v7
	s_cbranch_vccnz .LBB2_18
.LBB2_15:
	v_cmp_gt_i32_e32 vcc, s13, v7
	v_cmp_le_i32_e64 s[2:3], v2, v7
	s_and_b64 s[2:3], s[2:3], vcc
	s_and_b64 s[2:3], s[2:3], exec
	s_cbranch_execz .LBB2_19
	s_branch .LBB2_20
.LBB2_16:
	v_cmp_le_i32_e32 vcc, v7, v2
	s_xor_b64 s[2:3], s[0:1], -1
	s_and_b64 s[2:3], vcc, s[2:3]
	s_andn2_b64 s[6:7], s[6:7], exec
	s_and_b64 s[2:3], s[2:3], exec
	s_or_b64 s[6:7], s[6:7], s[2:3]
	v_ashrrev_i32_e32 v1, 31, v0
	s_and_saveexec_b64 s[2:3], s[6:7]
	s_cbranch_execz .LBB2_14
.LBB2_17:
	v_ashrrev_i32_e32 v10, 31, v7
	v_mul_lo_u32 v11, s19, v7
	v_mad_u64_u32 v[8:9], s[6:7], s18, v7, 0
	v_mul_lo_u32 v12, s18, v10
	v_mul_lo_u32 v13, s11, v7
	;; [unrolled: 1-line block ×3, first 2 shown]
	v_add3_u32 v9, v9, v12, v11
	v_mad_u64_u32 v[10:11], s[6:7], s10, v7, 0
	v_lshlrev_b64 v[8:9], 2, v[8:9]
	v_mov_b32_e32 v12, s15
	v_add3_u32 v11, v11, v14, v13
	v_add_co_u32_e32 v8, vcc, s16, v8
	v_lshlrev_b64 v[10:11], 2, v[10:11]
	v_addc_co_u32_e32 v9, vcc, v12, v9, vcc
	v_mov_b32_e32 v13, s14
	v_add_co_u32_e32 v10, vcc, s12, v10
	v_addc_co_u32_e32 v11, vcc, v13, v11, vcc
	flat_load_dword v12, v[5:6]
	flat_load_dword v13, v[10:11]
	;; [unrolled: 1-line block ×4, first 2 shown]
	v_lshlrev_b64 v[8:9], 2, v[0:1]
	v_mov_b32_e32 v10, s9
	v_add_co_u32_e32 v8, vcc, s8, v8
	v_addc_co_u32_e32 v9, vcc, v10, v9, vcc
	flat_load_dword v10, v[8:9]
	s_waitcnt vmcnt(0) lgkmcnt(0)
	v_mul_f32_e32 v13, s26, v13
	v_mul_f32_e32 v11, s26, v14
	;; [unrolled: 1-line block ×3, first 2 shown]
	v_fmac_f32_e32 v13, v11, v12
	v_add_f32_e32 v10, v10, v13
	flat_store_dword v[8:9], v10
	s_or_b64 exec, exec, s[2:3]
	s_andn2_b64 vcc, exec, s[4:5]
	v_add_u32_e32 v7, 0x80, v7
	s_cbranch_vccz .LBB2_15
.LBB2_18:
	s_mov_b64 s[2:3], 0
.LBB2_19:
	v_cmp_le_i32_e32 vcc, v7, v2
	s_xor_b64 s[0:1], s[0:1], -1
	s_and_b64 s[0:1], s[0:1], vcc
	s_andn2_b64 s[2:3], s[2:3], exec
	s_and_b64 s[0:1], s[0:1], exec
	s_or_b64 s[2:3], s[2:3], s[0:1]
.LBB2_20:
	s_and_saveexec_b64 s[0:1], s[2:3]
	s_cbranch_execz .LBB2_22
; %bb.21:
	v_ashrrev_i32_e32 v2, 31, v7
	v_mul_lo_u32 v10, s19, v7
	v_mad_u64_u32 v[8:9], s[0:1], s18, v7, 0
	v_mul_lo_u32 v11, s18, v2
	v_mul_lo_u32 v13, s11, v7
	;; [unrolled: 1-line block ×3, first 2 shown]
	v_mov_b32_e32 v12, s15
	v_add3_u32 v9, v9, v11, v10
	v_mad_u64_u32 v[10:11], s[0:1], s10, v7, 0
	v_lshlrev_b64 v[8:9], 2, v[8:9]
	v_lshlrev_b64 v[0:1], 2, v[0:1]
	v_add_co_u32_e32 v7, vcc, s16, v8
	v_add3_u32 v11, v11, v2, v13
	v_addc_co_u32_e32 v8, vcc, v12, v9, vcc
	flat_load_dword v9, v[5:6]
	v_lshlrev_b64 v[5:6], 2, v[10:11]
	v_mov_b32_e32 v2, s14
	v_add_co_u32_e32 v5, vcc, s12, v5
	v_addc_co_u32_e32 v6, vcc, v2, v6, vcc
	flat_load_dword v2, v[5:6]
	flat_load_dword v10, v[7:8]
	;; [unrolled: 1-line block ×3, first 2 shown]
	v_mov_b32_e32 v3, s9
	v_add_co_u32_e32 v0, vcc, s8, v0
	v_addc_co_u32_e32 v1, vcc, v3, v1, vcc
	flat_load_dword v3, v[0:1] offset:512
	s_waitcnt vmcnt(0) lgkmcnt(0)
	v_mul_f32_e32 v2, s26, v2
	v_mul_f32_e32 v4, s26, v10
	;; [unrolled: 1-line block ×3, first 2 shown]
	v_fmac_f32_e32 v2, v4, v9
	v_add_f32_e32 v2, v3, v2
	flat_store_dword v[0:1], v2 offset:512
.LBB2_22:
	s_endpgm
	.section	.rodata,"a",@progbits
	.p2align	6, 0x0
	.amdhsa_kernel _ZL19rocblas_spr2_kernelILi128ELi8ELi2E24rocblas_internal_val_ptrIfEPKPKfPKPfEvbbiT2_T3_lllSA_lllT4_lli
		.amdhsa_group_segment_fixed_size 0
		.amdhsa_private_segment_fixed_size 0
		.amdhsa_kernarg_size 108
		.amdhsa_user_sgpr_count 6
		.amdhsa_user_sgpr_private_segment_buffer 1
		.amdhsa_user_sgpr_dispatch_ptr 0
		.amdhsa_user_sgpr_queue_ptr 0
		.amdhsa_user_sgpr_kernarg_segment_ptr 1
		.amdhsa_user_sgpr_dispatch_id 0
		.amdhsa_user_sgpr_flat_scratch_init 0
		.amdhsa_user_sgpr_private_segment_size 0
		.amdhsa_uses_dynamic_stack 0
		.amdhsa_system_sgpr_private_segment_wavefront_offset 0
		.amdhsa_system_sgpr_workgroup_id_x 1
		.amdhsa_system_sgpr_workgroup_id_y 1
		.amdhsa_system_sgpr_workgroup_id_z 1
		.amdhsa_system_sgpr_workgroup_info 0
		.amdhsa_system_vgpr_workitem_id 1
		.amdhsa_next_free_vgpr 16
		.amdhsa_next_free_sgpr 30
		.amdhsa_reserve_vcc 1
		.amdhsa_reserve_flat_scratch 0
		.amdhsa_float_round_mode_32 0
		.amdhsa_float_round_mode_16_64 0
		.amdhsa_float_denorm_mode_32 3
		.amdhsa_float_denorm_mode_16_64 3
		.amdhsa_dx10_clamp 1
		.amdhsa_ieee_mode 1
		.amdhsa_fp16_overflow 0
		.amdhsa_exception_fp_ieee_invalid_op 0
		.amdhsa_exception_fp_denorm_src 0
		.amdhsa_exception_fp_ieee_div_zero 0
		.amdhsa_exception_fp_ieee_overflow 0
		.amdhsa_exception_fp_ieee_underflow 0
		.amdhsa_exception_fp_ieee_inexact 0
		.amdhsa_exception_int_div_zero 0
	.end_amdhsa_kernel
	.section	.text._ZL19rocblas_spr2_kernelILi128ELi8ELi2E24rocblas_internal_val_ptrIfEPKPKfPKPfEvbbiT2_T3_lllSA_lllT4_lli,"axG",@progbits,_ZL19rocblas_spr2_kernelILi128ELi8ELi2E24rocblas_internal_val_ptrIfEPKPKfPKPfEvbbiT2_T3_lllSA_lllT4_lli,comdat
.Lfunc_end2:
	.size	_ZL19rocblas_spr2_kernelILi128ELi8ELi2E24rocblas_internal_val_ptrIfEPKPKfPKPfEvbbiT2_T3_lllSA_lllT4_lli, .Lfunc_end2-_ZL19rocblas_spr2_kernelILi128ELi8ELi2E24rocblas_internal_val_ptrIfEPKPKfPKPfEvbbiT2_T3_lllSA_lllT4_lli
                                        ; -- End function
	.set _ZL19rocblas_spr2_kernelILi128ELi8ELi2E24rocblas_internal_val_ptrIfEPKPKfPKPfEvbbiT2_T3_lllSA_lllT4_lli.num_vgpr, 16
	.set _ZL19rocblas_spr2_kernelILi128ELi8ELi2E24rocblas_internal_val_ptrIfEPKPKfPKPfEvbbiT2_T3_lllSA_lllT4_lli.num_agpr, 0
	.set _ZL19rocblas_spr2_kernelILi128ELi8ELi2E24rocblas_internal_val_ptrIfEPKPKfPKPfEvbbiT2_T3_lllSA_lllT4_lli.numbered_sgpr, 30
	.set _ZL19rocblas_spr2_kernelILi128ELi8ELi2E24rocblas_internal_val_ptrIfEPKPKfPKPfEvbbiT2_T3_lllSA_lllT4_lli.num_named_barrier, 0
	.set _ZL19rocblas_spr2_kernelILi128ELi8ELi2E24rocblas_internal_val_ptrIfEPKPKfPKPfEvbbiT2_T3_lllSA_lllT4_lli.private_seg_size, 0
	.set _ZL19rocblas_spr2_kernelILi128ELi8ELi2E24rocblas_internal_val_ptrIfEPKPKfPKPfEvbbiT2_T3_lllSA_lllT4_lli.uses_vcc, 1
	.set _ZL19rocblas_spr2_kernelILi128ELi8ELi2E24rocblas_internal_val_ptrIfEPKPKfPKPfEvbbiT2_T3_lllSA_lllT4_lli.uses_flat_scratch, 0
	.set _ZL19rocblas_spr2_kernelILi128ELi8ELi2E24rocblas_internal_val_ptrIfEPKPKfPKPfEvbbiT2_T3_lllSA_lllT4_lli.has_dyn_sized_stack, 0
	.set _ZL19rocblas_spr2_kernelILi128ELi8ELi2E24rocblas_internal_val_ptrIfEPKPKfPKPfEvbbiT2_T3_lllSA_lllT4_lli.has_recursion, 0
	.set _ZL19rocblas_spr2_kernelILi128ELi8ELi2E24rocblas_internal_val_ptrIfEPKPKfPKPfEvbbiT2_T3_lllSA_lllT4_lli.has_indirect_call, 0
	.section	.AMDGPU.csdata,"",@progbits
; Kernel info:
; codeLenInByte = 1048
; TotalNumSgprs: 34
; NumVgprs: 16
; ScratchSize: 0
; MemoryBound: 0
; FloatMode: 240
; IeeeMode: 1
; LDSByteSize: 0 bytes/workgroup (compile time only)
; SGPRBlocks: 4
; VGPRBlocks: 3
; NumSGPRsForWavesPerEU: 34
; NumVGPRsForWavesPerEU: 16
; Occupancy: 10
; WaveLimiterHint : 1
; COMPUTE_PGM_RSRC2:SCRATCH_EN: 0
; COMPUTE_PGM_RSRC2:USER_SGPR: 6
; COMPUTE_PGM_RSRC2:TRAP_HANDLER: 0
; COMPUTE_PGM_RSRC2:TGID_X_EN: 1
; COMPUTE_PGM_RSRC2:TGID_Y_EN: 1
; COMPUTE_PGM_RSRC2:TGID_Z_EN: 1
; COMPUTE_PGM_RSRC2:TIDIG_COMP_CNT: 1
	.section	.text._ZL19rocblas_spr2_kernelILi128ELi8ELi1E24rocblas_internal_val_ptrIdEPKPKdPKPdEvbbiT2_T3_lllSA_lllT4_lli,"axG",@progbits,_ZL19rocblas_spr2_kernelILi128ELi8ELi1E24rocblas_internal_val_ptrIdEPKPKdPKPdEvbbiT2_T3_lllSA_lllT4_lli,comdat
	.globl	_ZL19rocblas_spr2_kernelILi128ELi8ELi1E24rocblas_internal_val_ptrIdEPKPKdPKPdEvbbiT2_T3_lllSA_lllT4_lli ; -- Begin function _ZL19rocblas_spr2_kernelILi128ELi8ELi1E24rocblas_internal_val_ptrIdEPKPKdPKPdEvbbiT2_T3_lllSA_lllT4_lli
	.p2align	8
	.type	_ZL19rocblas_spr2_kernelILi128ELi8ELi1E24rocblas_internal_val_ptrIdEPKPKdPKPdEvbbiT2_T3_lllSA_lllT4_lli,@function
_ZL19rocblas_spr2_kernelILi128ELi8ELi1E24rocblas_internal_val_ptrIdEPKPKdPKPdEvbbiT2_T3_lllSA_lllT4_lli: ; @_ZL19rocblas_spr2_kernelILi128ELi8ELi1E24rocblas_internal_val_ptrIdEPKPKdPKPdEvbbiT2_T3_lllSA_lllT4_lli
; %bb.0:
	s_load_dword s0, s[4:5], 0x0
	s_load_dwordx8 s[12:19], s[4:5], 0x8
	s_waitcnt lgkmcnt(0)
	s_bitcmp1_b32 s0, 0
	s_cselect_b64 s[0:1], -1, 0
	v_mov_b32_e32 v2, s12
	s_and_b64 vcc, exec, s[0:1]
	v_mov_b32_e32 v3, s13
	s_cbranch_vccnz .LBB3_2
; %bb.1:
	v_mov_b32_e32 v2, s12
	v_mov_b32_e32 v3, s13
	flat_load_dwordx2 v[2:3], v[2:3]
.LBB3_2:
	s_waitcnt vmcnt(0) lgkmcnt(0)
	v_cmp_neq_f64_e32 vcc, 0, v[2:3]
	s_and_saveexec_b64 s[0:1], vcc
	s_cbranch_execz .LBB3_13
; %bb.3:
	s_load_dwordx2 s[24:25], s[4:5], 0x0
	s_load_dwordx4 s[20:23], s[4:5], 0x30
	s_load_dwordx4 s[0:3], s[4:5], 0x50
	s_mov_b32 s9, 0
	s_mov_b64 s[28:29], -1
	s_waitcnt lgkmcnt(0)
	s_bitcmp1_b32 s24, 8
	s_cselect_b64 s[10:11], -1, 0
	s_xor_b64 s[26:27], s[10:11], -1
	s_lshl_b64 s[12:13], s[8:9], 3
	s_add_u32 s8, s0, s12
	s_addc_u32 s9, s1, s13
	s_add_u32 s10, s14, s12
	s_addc_u32 s11, s15, s13
	;; [unrolled: 2-line block ×3, first 2 shown]
	v_lshl_add_u32 v4, s6, 7, v0
	v_lshl_add_u32 v1, s7, 3, v1
	s_and_b64 vcc, exec, s[26:27]
                                        ; implicit-def: $vgpr0
	s_cbranch_vccnz .LBB3_7
; %bb.4:
	s_andn2_b64 vcc, exec, s[28:29]
	s_cbranch_vccz .LBB3_8
.LBB3_5:
	s_and_b64 vcc, exec, s[26:27]
	s_cbranch_vccz .LBB3_9
.LBB3_6:
	v_cmp_gt_i32_e32 vcc, s25, v4
	v_cmp_ge_i32_e64 s[0:1], v4, v1
	s_and_b64 s[6:7], s[0:1], vcc
	s_and_b64 s[6:7], s[6:7], exec
	s_cbranch_execz .LBB3_10
	s_branch .LBB3_11
.LBB3_7:
	s_lshl_b32 s0, s25, 1
	v_sub_u32_e32 v0, s0, v1
	v_mad_u64_u32 v[5:6], s[0:1], v1, v0, v[1:2]
	v_sub_u32_e32 v0, v4, v1
	v_lshrrev_b32_e32 v6, 31, v5
	v_add_u32_e32 v5, v5, v6
	v_ashrrev_i32_e32 v5, 1, v5
	v_add_u32_e32 v0, v0, v5
	s_cbranch_execnz .LBB3_5
.LBB3_8:
	v_mad_u64_u32 v[5:6], s[0:1], v1, v1, v[1:2]
	v_lshrrev_b32_e32 v0, 31, v5
	v_add_u32_e32 v0, v5, v0
	v_ashrrev_i32_e32 v0, 1, v0
	v_add_u32_e32 v0, v0, v4
	s_and_b64 vcc, exec, s[26:27]
	s_cbranch_vccnz .LBB3_6
.LBB3_9:
	s_mov_b64 s[6:7], 0
.LBB3_10:
	v_cmp_gt_i32_e32 vcc, s25, v1
	v_cmp_le_i32_e64 s[0:1], v4, v1
	s_and_b64 s[0:1], s[0:1], vcc
	s_andn2_b64 s[6:7], s[6:7], exec
	s_and_b64 s[0:1], s[0:1], exec
	s_or_b64 s[6:7], s[6:7], s[0:1]
.LBB3_11:
	s_and_b64 exec, exec, s[6:7]
	s_cbranch_execz .LBB3_13
; %bb.12:
	s_load_dwordx2 s[0:1], s[10:11], 0x0
	s_load_dwordx2 s[6:7], s[4:5], 0x40
	;; [unrolled: 1-line block ×4, first 2 shown]
	s_lshl_b64 s[4:5], s[16:17], 3
	s_waitcnt lgkmcnt(0)
	s_add_u32 s4, s0, s4
	s_addc_u32 s5, s1, s5
	s_lshl_b64 s[0:1], s[22:23], 3
	s_add_u32 s8, s20, s0
	v_ashrrev_i32_e32 v7, 31, v1
	s_addc_u32 s9, s21, s1
	v_mul_lo_u32 v10, s6, v7
	v_mul_lo_u32 v11, s19, v1
	;; [unrolled: 1-line block ×3, first 2 shown]
	v_mad_u64_u32 v[7:8], s[0:1], s18, v1, 0
	v_mul_lo_u32 v16, s7, v4
	v_mul_lo_u32 v9, s7, v1
	v_add3_u32 v8, v8, v12, v11
	v_ashrrev_i32_e32 v11, 31, v4
	v_mul_lo_u32 v15, s18, v11
	v_mul_lo_u32 v17, s6, v11
	v_mad_u64_u32 v[11:12], s[0:1], s6, v4, 0
	v_mad_u64_u32 v[5:6], s[0:1], s6, v1, 0
	v_lshlrev_b64 v[7:8], 3, v[7:8]
	v_add3_u32 v12, v12, v17, v16
	v_mov_b32_e32 v13, s5
	v_add_co_u32_e32 v7, vcc, s4, v7
	v_lshlrev_b64 v[11:12], 3, v[11:12]
	v_addc_co_u32_e32 v8, vcc, v13, v8, vcc
	v_add3_u32 v6, v6, v10, v9
	v_mul_lo_u32 v14, s19, v4
	v_mad_u64_u32 v[9:10], s[0:1], s18, v4, 0
	v_mov_b32_e32 v4, s9
	v_add_co_u32_e32 v11, vcc, s8, v11
	v_addc_co_u32_e32 v12, vcc, v4, v12, vcc
	flat_load_dwordx2 v[11:12], v[11:12]
	v_add3_u32 v10, v10, v15, v14
	v_lshlrev_b64 v[9:10], 3, v[9:10]
	v_mov_b32_e32 v4, s5
	v_add_co_u32_e32 v9, vcc, s4, v9
	v_addc_co_u32_e32 v10, vcc, v4, v10, vcc
	flat_load_dwordx2 v[13:14], v[9:10]
	flat_load_dwordx2 v[15:16], v[7:8]
	v_lshlrev_b64 v[5:6], 3, v[5:6]
	v_mov_b32_e32 v1, s9
	v_add_co_u32_e32 v4, vcc, s8, v5
	v_addc_co_u32_e32 v5, vcc, v1, v6, vcc
	flat_load_dwordx2 v[4:5], v[4:5]
	s_lshl_b64 s[0:1], s[2:3], 3
	v_ashrrev_i32_e32 v1, 31, v0
	s_add_u32 s0, s14, s0
	v_lshlrev_b64 v[0:1], 3, v[0:1]
	s_addc_u32 s1, s15, s1
	v_mov_b32_e32 v6, s1
	v_add_co_u32_e32 v0, vcc, s0, v0
	v_addc_co_u32_e32 v1, vcc, v6, v1, vcc
	flat_load_dwordx2 v[6:7], v[0:1]
	s_waitcnt vmcnt(0) lgkmcnt(0)
	v_mul_f64 v[8:9], v[2:3], v[11:12]
	v_mul_f64 v[2:3], v[2:3], v[13:14]
	;; [unrolled: 1-line block ×3, first 2 shown]
	v_fma_f64 v[2:3], v[2:3], v[4:5], v[8:9]
	v_add_f64 v[2:3], v[6:7], v[2:3]
	flat_store_dwordx2 v[0:1], v[2:3]
.LBB3_13:
	s_endpgm
	.section	.rodata,"a",@progbits
	.p2align	6, 0x0
	.amdhsa_kernel _ZL19rocblas_spr2_kernelILi128ELi8ELi1E24rocblas_internal_val_ptrIdEPKPKdPKPdEvbbiT2_T3_lllSA_lllT4_lli
		.amdhsa_group_segment_fixed_size 0
		.amdhsa_private_segment_fixed_size 0
		.amdhsa_kernarg_size 108
		.amdhsa_user_sgpr_count 6
		.amdhsa_user_sgpr_private_segment_buffer 1
		.amdhsa_user_sgpr_dispatch_ptr 0
		.amdhsa_user_sgpr_queue_ptr 0
		.amdhsa_user_sgpr_kernarg_segment_ptr 1
		.amdhsa_user_sgpr_dispatch_id 0
		.amdhsa_user_sgpr_flat_scratch_init 0
		.amdhsa_user_sgpr_private_segment_size 0
		.amdhsa_uses_dynamic_stack 0
		.amdhsa_system_sgpr_private_segment_wavefront_offset 0
		.amdhsa_system_sgpr_workgroup_id_x 1
		.amdhsa_system_sgpr_workgroup_id_y 1
		.amdhsa_system_sgpr_workgroup_id_z 1
		.amdhsa_system_sgpr_workgroup_info 0
		.amdhsa_system_vgpr_workitem_id 1
		.amdhsa_next_free_vgpr 18
		.amdhsa_next_free_sgpr 30
		.amdhsa_reserve_vcc 1
		.amdhsa_reserve_flat_scratch 0
		.amdhsa_float_round_mode_32 0
		.amdhsa_float_round_mode_16_64 0
		.amdhsa_float_denorm_mode_32 3
		.amdhsa_float_denorm_mode_16_64 3
		.amdhsa_dx10_clamp 1
		.amdhsa_ieee_mode 1
		.amdhsa_fp16_overflow 0
		.amdhsa_exception_fp_ieee_invalid_op 0
		.amdhsa_exception_fp_denorm_src 0
		.amdhsa_exception_fp_ieee_div_zero 0
		.amdhsa_exception_fp_ieee_overflow 0
		.amdhsa_exception_fp_ieee_underflow 0
		.amdhsa_exception_fp_ieee_inexact 0
		.amdhsa_exception_int_div_zero 0
	.end_amdhsa_kernel
	.section	.text._ZL19rocblas_spr2_kernelILi128ELi8ELi1E24rocblas_internal_val_ptrIdEPKPKdPKPdEvbbiT2_T3_lllSA_lllT4_lli,"axG",@progbits,_ZL19rocblas_spr2_kernelILi128ELi8ELi1E24rocblas_internal_val_ptrIdEPKPKdPKPdEvbbiT2_T3_lllSA_lllT4_lli,comdat
.Lfunc_end3:
	.size	_ZL19rocblas_spr2_kernelILi128ELi8ELi1E24rocblas_internal_val_ptrIdEPKPKdPKPdEvbbiT2_T3_lllSA_lllT4_lli, .Lfunc_end3-_ZL19rocblas_spr2_kernelILi128ELi8ELi1E24rocblas_internal_val_ptrIdEPKPKdPKPdEvbbiT2_T3_lllSA_lllT4_lli
                                        ; -- End function
	.set _ZL19rocblas_spr2_kernelILi128ELi8ELi1E24rocblas_internal_val_ptrIdEPKPKdPKPdEvbbiT2_T3_lllSA_lllT4_lli.num_vgpr, 18
	.set _ZL19rocblas_spr2_kernelILi128ELi8ELi1E24rocblas_internal_val_ptrIdEPKPKdPKPdEvbbiT2_T3_lllSA_lllT4_lli.num_agpr, 0
	.set _ZL19rocblas_spr2_kernelILi128ELi8ELi1E24rocblas_internal_val_ptrIdEPKPKdPKPdEvbbiT2_T3_lllSA_lllT4_lli.numbered_sgpr, 30
	.set _ZL19rocblas_spr2_kernelILi128ELi8ELi1E24rocblas_internal_val_ptrIdEPKPKdPKPdEvbbiT2_T3_lllSA_lllT4_lli.num_named_barrier, 0
	.set _ZL19rocblas_spr2_kernelILi128ELi8ELi1E24rocblas_internal_val_ptrIdEPKPKdPKPdEvbbiT2_T3_lllSA_lllT4_lli.private_seg_size, 0
	.set _ZL19rocblas_spr2_kernelILi128ELi8ELi1E24rocblas_internal_val_ptrIdEPKPKdPKPdEvbbiT2_T3_lllSA_lllT4_lli.uses_vcc, 1
	.set _ZL19rocblas_spr2_kernelILi128ELi8ELi1E24rocblas_internal_val_ptrIdEPKPKdPKPdEvbbiT2_T3_lllSA_lllT4_lli.uses_flat_scratch, 0
	.set _ZL19rocblas_spr2_kernelILi128ELi8ELi1E24rocblas_internal_val_ptrIdEPKPKdPKPdEvbbiT2_T3_lllSA_lllT4_lli.has_dyn_sized_stack, 0
	.set _ZL19rocblas_spr2_kernelILi128ELi8ELi1E24rocblas_internal_val_ptrIdEPKPKdPKPdEvbbiT2_T3_lllSA_lllT4_lli.has_recursion, 0
	.set _ZL19rocblas_spr2_kernelILi128ELi8ELi1E24rocblas_internal_val_ptrIdEPKPKdPKPdEvbbiT2_T3_lllSA_lllT4_lli.has_indirect_call, 0
	.section	.AMDGPU.csdata,"",@progbits
; Kernel info:
; codeLenInByte = 740
; TotalNumSgprs: 34
; NumVgprs: 18
; ScratchSize: 0
; MemoryBound: 0
; FloatMode: 240
; IeeeMode: 1
; LDSByteSize: 0 bytes/workgroup (compile time only)
; SGPRBlocks: 4
; VGPRBlocks: 4
; NumSGPRsForWavesPerEU: 34
; NumVGPRsForWavesPerEU: 18
; Occupancy: 10
; WaveLimiterHint : 1
; COMPUTE_PGM_RSRC2:SCRATCH_EN: 0
; COMPUTE_PGM_RSRC2:USER_SGPR: 6
; COMPUTE_PGM_RSRC2:TRAP_HANDLER: 0
; COMPUTE_PGM_RSRC2:TGID_X_EN: 1
; COMPUTE_PGM_RSRC2:TGID_Y_EN: 1
; COMPUTE_PGM_RSRC2:TGID_Z_EN: 1
; COMPUTE_PGM_RSRC2:TIDIG_COMP_CNT: 1
	.section	.AMDGPU.gpr_maximums,"",@progbits
	.set amdgpu.max_num_vgpr, 0
	.set amdgpu.max_num_agpr, 0
	.set amdgpu.max_num_sgpr, 0
	.section	.AMDGPU.csdata,"",@progbits
	.type	__hip_cuid_cdc0eb253e8096e6,@object ; @__hip_cuid_cdc0eb253e8096e6
	.section	.bss,"aw",@nobits
	.globl	__hip_cuid_cdc0eb253e8096e6
__hip_cuid_cdc0eb253e8096e6:
	.byte	0                               ; 0x0
	.size	__hip_cuid_cdc0eb253e8096e6, 1

	.ident	"AMD clang version 22.0.0git (https://github.com/RadeonOpenCompute/llvm-project roc-7.2.4 26084 f58b06dce1f9c15707c5f808fd002e18c2accf7e)"
	.section	".note.GNU-stack","",@progbits
	.addrsig
	.addrsig_sym __hip_cuid_cdc0eb253e8096e6
	.amdgpu_metadata
---
amdhsa.kernels:
  - .args:
      - .offset:         0
        .size:           1
        .value_kind:     by_value
      - .offset:         1
        .size:           1
        .value_kind:     by_value
      - .offset:         4
        .size:           4
        .value_kind:     by_value
      - .offset:         8
        .size:           8
        .value_kind:     by_value
      - .address_space:  global
        .offset:         16
        .size:           8
        .value_kind:     global_buffer
      - .offset:         24
        .size:           8
        .value_kind:     by_value
      - .offset:         32
        .size:           8
        .value_kind:     by_value
      - .offset:         40
        .size:           8
        .value_kind:     by_value
      - .address_space:  global
        .offset:         48
        .size:           8
        .value_kind:     global_buffer
      - .offset:         56
        .size:           8
        .value_kind:     by_value
      - .offset:         64
        .size:           8
        .value_kind:     by_value
      - .offset:         72
        .size:           8
        .value_kind:     by_value
      - .address_space:  global
        .offset:         80
        .size:           8
        .value_kind:     global_buffer
      - .offset:         88
        .size:           8
        .value_kind:     by_value
      - .offset:         96
        .size:           8
        .value_kind:     by_value
      - .offset:         104
        .size:           4
        .value_kind:     by_value
    .group_segment_fixed_size: 0
    .kernarg_segment_align: 8
    .kernarg_segment_size: 108
    .language:       OpenCL C
    .language_version:
      - 2
      - 0
    .max_flat_workgroup_size: 1024
    .name:           _ZL19rocblas_spr2_kernelILi128ELi8ELi2E24rocblas_internal_val_ptrIfEPKfPfEvbbiT2_T3_lllS6_lllT4_lli
    .private_segment_fixed_size: 0
    .sgpr_count:     48
    .sgpr_spill_count: 0
    .symbol:         _ZL19rocblas_spr2_kernelILi128ELi8ELi2E24rocblas_internal_val_ptrIfEPKfPfEvbbiT2_T3_lllS6_lllT4_lli.kd
    .uniform_work_group_size: 1
    .uses_dynamic_stack: false
    .vgpr_count:     16
    .vgpr_spill_count: 0
    .wavefront_size: 64
  - .args:
      - .offset:         0
        .size:           1
        .value_kind:     by_value
      - .offset:         1
        .size:           1
        .value_kind:     by_value
      - .offset:         4
        .size:           4
        .value_kind:     by_value
      - .offset:         8
        .size:           8
        .value_kind:     by_value
      - .address_space:  global
        .offset:         16
        .size:           8
        .value_kind:     global_buffer
      - .offset:         24
        .size:           8
        .value_kind:     by_value
      - .offset:         32
        .size:           8
        .value_kind:     by_value
      - .offset:         40
        .size:           8
        .value_kind:     by_value
      - .address_space:  global
        .offset:         48
        .size:           8
        .value_kind:     global_buffer
      - .offset:         56
        .size:           8
        .value_kind:     by_value
      - .offset:         64
        .size:           8
        .value_kind:     by_value
      - .offset:         72
        .size:           8
        .value_kind:     by_value
      - .address_space:  global
        .offset:         80
        .size:           8
        .value_kind:     global_buffer
      - .offset:         88
        .size:           8
        .value_kind:     by_value
      - .offset:         96
        .size:           8
        .value_kind:     by_value
      - .offset:         104
        .size:           4
        .value_kind:     by_value
    .group_segment_fixed_size: 0
    .kernarg_segment_align: 8
    .kernarg_segment_size: 108
    .language:       OpenCL C
    .language_version:
      - 2
      - 0
    .max_flat_workgroup_size: 1024
    .name:           _ZL19rocblas_spr2_kernelILi128ELi8ELi1E24rocblas_internal_val_ptrIdEPKdPdEvbbiT2_T3_lllS6_lllT4_lli
    .private_segment_fixed_size: 0
    .sgpr_count:     48
    .sgpr_spill_count: 0
    .symbol:         _ZL19rocblas_spr2_kernelILi128ELi8ELi1E24rocblas_internal_val_ptrIdEPKdPdEvbbiT2_T3_lllS6_lllT4_lli.kd
    .uniform_work_group_size: 1
    .uses_dynamic_stack: false
    .vgpr_count:     17
    .vgpr_spill_count: 0
    .wavefront_size: 64
  - .args:
      - .offset:         0
        .size:           1
        .value_kind:     by_value
      - .offset:         1
        .size:           1
        .value_kind:     by_value
      - .offset:         4
        .size:           4
        .value_kind:     by_value
      - .offset:         8
        .size:           8
        .value_kind:     by_value
      - .address_space:  global
        .offset:         16
        .size:           8
        .value_kind:     global_buffer
      - .offset:         24
        .size:           8
        .value_kind:     by_value
      - .offset:         32
        .size:           8
        .value_kind:     by_value
      - .offset:         40
        .size:           8
        .value_kind:     by_value
      - .address_space:  global
        .offset:         48
        .size:           8
        .value_kind:     global_buffer
      - .offset:         56
        .size:           8
        .value_kind:     by_value
      - .offset:         64
        .size:           8
        .value_kind:     by_value
      - .offset:         72
        .size:           8
        .value_kind:     by_value
      - .address_space:  global
        .offset:         80
        .size:           8
        .value_kind:     global_buffer
      - .offset:         88
        .size:           8
        .value_kind:     by_value
      - .offset:         96
        .size:           8
        .value_kind:     by_value
      - .offset:         104
        .size:           4
        .value_kind:     by_value
    .group_segment_fixed_size: 0
    .kernarg_segment_align: 8
    .kernarg_segment_size: 108
    .language:       OpenCL C
    .language_version:
      - 2
      - 0
    .max_flat_workgroup_size: 1024
    .name:           _ZL19rocblas_spr2_kernelILi128ELi8ELi2E24rocblas_internal_val_ptrIfEPKPKfPKPfEvbbiT2_T3_lllSA_lllT4_lli
    .private_segment_fixed_size: 0
    .sgpr_count:     34
    .sgpr_spill_count: 0
    .symbol:         _ZL19rocblas_spr2_kernelILi128ELi8ELi2E24rocblas_internal_val_ptrIfEPKPKfPKPfEvbbiT2_T3_lllSA_lllT4_lli.kd
    .uniform_work_group_size: 1
    .uses_dynamic_stack: false
    .vgpr_count:     16
    .vgpr_spill_count: 0
    .wavefront_size: 64
  - .args:
      - .offset:         0
        .size:           1
        .value_kind:     by_value
      - .offset:         1
        .size:           1
        .value_kind:     by_value
      - .offset:         4
        .size:           4
        .value_kind:     by_value
      - .offset:         8
        .size:           8
        .value_kind:     by_value
      - .address_space:  global
        .offset:         16
        .size:           8
        .value_kind:     global_buffer
      - .offset:         24
        .size:           8
        .value_kind:     by_value
      - .offset:         32
        .size:           8
        .value_kind:     by_value
      - .offset:         40
        .size:           8
        .value_kind:     by_value
      - .address_space:  global
        .offset:         48
        .size:           8
        .value_kind:     global_buffer
      - .offset:         56
        .size:           8
        .value_kind:     by_value
      - .offset:         64
        .size:           8
        .value_kind:     by_value
      - .offset:         72
        .size:           8
        .value_kind:     by_value
      - .address_space:  global
        .offset:         80
        .size:           8
        .value_kind:     global_buffer
      - .offset:         88
        .size:           8
        .value_kind:     by_value
      - .offset:         96
        .size:           8
        .value_kind:     by_value
      - .offset:         104
        .size:           4
        .value_kind:     by_value
    .group_segment_fixed_size: 0
    .kernarg_segment_align: 8
    .kernarg_segment_size: 108
    .language:       OpenCL C
    .language_version:
      - 2
      - 0
    .max_flat_workgroup_size: 1024
    .name:           _ZL19rocblas_spr2_kernelILi128ELi8ELi1E24rocblas_internal_val_ptrIdEPKPKdPKPdEvbbiT2_T3_lllSA_lllT4_lli
    .private_segment_fixed_size: 0
    .sgpr_count:     34
    .sgpr_spill_count: 0
    .symbol:         _ZL19rocblas_spr2_kernelILi128ELi8ELi1E24rocblas_internal_val_ptrIdEPKPKdPKPdEvbbiT2_T3_lllSA_lllT4_lli.kd
    .uniform_work_group_size: 1
    .uses_dynamic_stack: false
    .vgpr_count:     18
    .vgpr_spill_count: 0
    .wavefront_size: 64
amdhsa.target:   amdgcn-amd-amdhsa--gfx906
amdhsa.version:
  - 1
  - 2
...

	.end_amdgpu_metadata
